;; amdgpu-corpus repo=ROCm/rocFFT kind=compiled arch=gfx950 opt=O3
	.text
	.amdgcn_target "amdgcn-amd-amdhsa--gfx950"
	.amdhsa_code_object_version 6
	.protected	bluestein_single_back_len8_dim1_sp_op_CI_CI ; -- Begin function bluestein_single_back_len8_dim1_sp_op_CI_CI
	.globl	bluestein_single_back_len8_dim1_sp_op_CI_CI
	.p2align	8
	.type	bluestein_single_back_len8_dim1_sp_op_CI_CI,@function
bluestein_single_back_len8_dim1_sp_op_CI_CI: ; @bluestein_single_back_len8_dim1_sp_op_CI_CI
; %bb.0:
	s_load_dwordx4 s[8:11], s[0:1], 0x28
	v_lshrrev_b32_e32 v1, 2, v0
	v_lshl_or_b32 v8, s2, 4, v1
	v_mov_b32_e32 v9, 0
	s_waitcnt lgkmcnt(0)
	v_cmp_gt_u64_e32 vcc, s[8:9], v[8:9]
	s_and_saveexec_b64 s[2:3], vcc
	s_cbranch_execz .LBB0_15
; %bb.1:
	s_load_dwordx2 s[12:13], s[0:1], 0x0
	s_load_dwordx2 s[8:9], s[0:1], 0x38
	v_and_b32_e32 v9, 3, v0
	v_lshlrev_b32_e32 v10, 3, v1
	v_cmp_gt_u32_e32 vcc, 2, v9
	v_lshlrev_b32_e32 v17, 3, v9
	v_or_b32_e32 v12, v10, v9
	v_or_b32_e32 v14, 2, v9
	v_add_lshl_u32 v16, v10, v9, 3
	v_or_b32_e32 v15, 6, v9
	s_and_saveexec_b64 s[2:3], vcc
	s_cbranch_execz .LBB0_3
; %bb.2:
	s_load_dwordx2 s[4:5], s[0:1], 0x18
	v_mov_b32_e32 v0, s10
	v_mov_b32_e32 v1, s11
	v_lshlrev_b32_e32 v11, 3, v12
	s_waitcnt lgkmcnt(0)
	s_load_dwordx4 s[4:7], s[4:5], 0x0
	s_waitcnt lgkmcnt(0)
	v_mad_u64_u32 v[2:3], s[10:11], s6, v8, 0
	v_mad_u64_u32 v[4:5], s[10:11], s4, v9, 0
	v_mov_b32_e32 v6, v3
	v_mov_b32_e32 v18, v5
	v_mad_u64_u32 v[6:7], s[6:7], s7, v8, v[6:7]
	v_mov_b32_e32 v3, v6
	v_mad_u64_u32 v[6:7], s[6:7], s5, v9, v[18:19]
	v_mov_b32_e32 v5, v6
	v_lshl_add_u64 v[0:1], v[2:3], 3, v[0:1]
	v_lshl_add_u64 v[2:3], v[4:5], 3, v[0:1]
	v_mad_u64_u32 v[4:5], s[6:7], s4, v14, 0
	v_mov_b32_e32 v6, v5
	v_mad_u64_u32 v[6:7], s[6:7], s5, v14, v[6:7]
	v_mov_b32_e32 v5, v6
	s_lshl_b64 s[6:7], s[4:5], 5
	v_lshl_add_u64 v[4:5], v[4:5], 3, v[0:1]
	v_lshl_add_u64 v[6:7], v[2:3], 0, s[6:7]
	global_load_dwordx2 v[18:19], v[2:3], off
	global_load_dwordx2 v[20:21], v[4:5], off
	;; [unrolled: 1-line block ×3, first 2 shown]
	global_load_dwordx2 v[24:25], v17, s[12:13]
	v_mad_u64_u32 v[2:3], s[6:7], s4, v15, 0
	v_mov_b32_e32 v6, v3
	global_load_dwordx2 v[4:5], v17, s[12:13] offset:16
	v_mad_u64_u32 v[6:7], s[4:5], s5, v15, v[6:7]
	v_mov_b32_e32 v3, v6
	v_lshl_add_u64 v[0:1], v[2:3], 3, v[0:1]
	global_load_dwordx2 v[2:3], v17, s[12:13] offset:32
	global_load_dwordx2 v[6:7], v17, s[12:13] offset:48
	global_load_dwordx2 v[26:27], v[0:1], off
	s_waitcnt vmcnt(4)
	v_mul_f32_e32 v0, v19, v25
	v_mul_f32_e32 v1, v18, v25
	v_fmac_f32_e32 v0, v18, v24
	v_fma_f32 v1, v19, v24, -v1
	s_waitcnt vmcnt(3)
	v_mul_f32_e32 v28, v21, v5
	v_mul_f32_e32 v5, v20, v5
	v_fmac_f32_e32 v28, v20, v4
	v_fma_f32 v29, v21, v4, -v5
	s_waitcnt vmcnt(2)
	v_mul_f32_e32 v4, v23, v3
	v_mul_f32_e32 v3, v22, v3
	s_waitcnt vmcnt(0)
	v_mul_f32_e32 v18, v27, v7
	v_mul_f32_e32 v7, v26, v7
	v_fmac_f32_e32 v4, v22, v2
	v_fma_f32 v5, v23, v2, -v3
	ds_write_b64 v11, v[0:1]
	v_fmac_f32_e32 v18, v26, v6
	v_fma_f32 v19, v27, v6, -v7
	ds_write2_b64 v16, v[28:29], v[4:5] offset0:2 offset1:4
	ds_write_b64 v16, v[18:19] offset:48
.LBB0_3:
	s_or_b64 exec, exec, s[2:3]
	s_load_dwordx2 s[2:3], s[0:1], 0x20
	s_load_dwordx2 s[4:5], s[0:1], 0x8
	s_waitcnt lgkmcnt(0)
	; wave barrier
	s_waitcnt lgkmcnt(0)
                                        ; implicit-def: $vgpr0
                                        ; implicit-def: $vgpr4
	s_and_saveexec_b64 s[0:1], vcc
	s_cbranch_execz .LBB0_5
; %bb.4:
	v_lshlrev_b32_e32 v4, 3, v12
	ds_read2_b64 v[0:3], v4 offset1:2
	ds_read2_b64 v[4:7], v4 offset0:4 offset1:6
.LBB0_5:
	s_or_b64 exec, exec, s[0:1]
	s_waitcnt lgkmcnt(0)
	v_pk_add_f32 v[4:5], v[0:1], v[4:5] neg_lo:[0,1] neg_hi:[0,1]
	v_pk_add_f32 v[18:19], v[2:3], v[6:7] neg_lo:[0,1] neg_hi:[0,1]
	v_pk_fma_f32 v[6:7], v[0:1], 2.0, v[4:5] op_sel_hi:[1,0,1] neg_lo:[0,0,1] neg_hi:[0,0,1]
	v_pk_fma_f32 v[0:1], v[2:3], 2.0, v[18:19] op_sel_hi:[1,0,1] neg_lo:[0,0,1] neg_hi:[0,0,1]
	v_mov_b32_e32 v11, v18
	v_mov_b32_e32 v2, v19
	;; [unrolled: 1-line block ×3, first 2 shown]
	v_pk_add_f32 v[2:3], v[4:5], v[2:3] neg_lo:[0,1] neg_hi:[0,1]
	v_pk_add_f32 v[18:19], v[10:11], v[4:5]
	v_pk_add_f32 v[0:1], v[6:7], v[0:1] neg_lo:[0,1] neg_hi:[0,1]
	v_mov_b32_e32 v3, v19
	v_lshlrev_b32_e32 v19, 3, v10
	s_waitcnt lgkmcnt(0)
	; wave barrier
	s_and_saveexec_b64 s[0:1], vcc
	s_cbranch_execz .LBB0_7
; %bb.6:
	v_lshl_or_b32 v10, v9, 5, v19
	v_pk_fma_f32 v[20:21], v[6:7], 2.0, v[0:1] op_sel_hi:[1,0,1] neg_lo:[0,0,1] neg_hi:[0,0,1]
	v_pk_fma_f32 v[22:23], v[4:5], 2.0, v[2:3] op_sel_hi:[1,0,1] neg_lo:[0,0,1] neg_hi:[0,0,1]
	ds_write_b128 v10, v[20:23]
	ds_write_b128 v10, v[0:3] offset:16
.LBB0_7:
	s_or_b64 exec, exec, s[0:1]
	s_load_dwordx4 s[0:3], s[2:3], 0x0
	s_waitcnt lgkmcnt(0)
	; wave barrier
	s_waitcnt lgkmcnt(0)
	global_load_dwordx2 v[10:11], v17, s[4:5]
	v_lshlrev_b32_e32 v18, 3, v12
	ds_read2_b64 v[4:7], v18 offset1:4
	s_waitcnt vmcnt(0) lgkmcnt(0)
	v_pk_mul_f32 v[12:13], v[6:7], v[10:11] op_sel:[0,1]
	s_nop 0
	v_pk_fma_f32 v[20:21], v[6:7], v[10:11], v[12:13] op_sel:[0,0,1] op_sel_hi:[1,1,0] neg_lo:[0,0,1] neg_hi:[0,0,1]
	v_pk_fma_f32 v[6:7], v[6:7], v[10:11], v[12:13] op_sel:[0,0,1] op_sel_hi:[1,0,0]
	s_nop 0
	v_mov_b32_e32 v21, v7
	v_pk_add_f32 v[6:7], v[4:5], v[20:21] neg_lo:[0,1] neg_hi:[0,1]
	s_nop 0
	v_pk_fma_f32 v[4:5], v[4:5], 2.0, v[6:7] op_sel_hi:[1,0,1] neg_lo:[0,0,1] neg_hi:[0,0,1]
	ds_write2_b64 v18, v[4:5], v[6:7] offset1:4
	s_waitcnt lgkmcnt(0)
	; wave barrier
	s_waitcnt lgkmcnt(0)
	s_and_saveexec_b64 s[4:5], vcc
	s_cbranch_execz .LBB0_9
; %bb.8:
	global_load_dwordx2 v[12:13], v17, s[12:13] offset:64
	s_add_u32 s6, s12, 64
	s_addc_u32 s7, s13, 0
	global_load_dwordx2 v[24:25], v17, s[6:7] offset:16
	global_load_dwordx2 v[26:27], v17, s[6:7] offset:32
	;; [unrolled: 1-line block ×3, first 2 shown]
	ds_read_b64 v[20:21], v18
	s_waitcnt vmcnt(3) lgkmcnt(0)
	v_mul_f32_e32 v22, v21, v13
	v_mul_f32_e32 v23, v20, v13
	v_fma_f32 v22, v20, v12, -v22
	v_fmac_f32_e32 v23, v21, v12
	ds_write_b64 v18, v[22:23]
	ds_read2_b64 v[20:23], v16 offset0:2 offset1:4
	ds_read_b64 v[12:13], v16 offset:48
	s_waitcnt vmcnt(2) lgkmcnt(1)
	v_mul_f32_e32 v30, v21, v25
	v_mul_f32_e32 v31, v20, v25
	s_waitcnt vmcnt(1)
	v_mul_f32_e32 v32, v23, v27
	v_mul_f32_e32 v25, v22, v27
	s_waitcnt vmcnt(0) lgkmcnt(0)
	v_mul_f32_e32 v33, v13, v29
	v_mul_f32_e32 v27, v12, v29
	v_fma_f32 v30, v20, v24, -v30
	v_fmac_f32_e32 v31, v21, v24
	v_fma_f32 v24, v22, v26, -v32
	v_fmac_f32_e32 v25, v23, v26
	v_fma_f32 v26, v12, v28, -v33
	v_fmac_f32_e32 v27, v13, v28
	ds_write2_b64 v16, v[30:31], v[24:25] offset0:2 offset1:4
	ds_write_b64 v16, v[26:27] offset:48
.LBB0_9:
	s_or_b64 exec, exec, s[4:5]
	s_waitcnt lgkmcnt(0)
	; wave barrier
	s_waitcnt lgkmcnt(0)
	s_and_saveexec_b64 s[4:5], vcc
	s_cbranch_execz .LBB0_11
; %bb.10:
	ds_read2_b64 v[4:7], v18 offset1:2
	ds_read2_b64 v[0:3], v18 offset0:4 offset1:6
.LBB0_11:
	s_or_b64 exec, exec, s[4:5]
	v_mov_b32_e32 v12, v10
	v_mov_b32_e32 v13, v10
	;; [unrolled: 1-line block ×3, first 2 shown]
	s_waitcnt lgkmcnt(0)
	; wave barrier
	s_waitcnt lgkmcnt(0)
	s_and_saveexec_b64 s[4:5], vcc
	s_cbranch_execz .LBB0_13
; %bb.12:
	v_pk_add_f32 v[20:21], v[4:5], v[0:1] neg_lo:[0,1] neg_hi:[0,1]
	v_pk_add_f32 v[22:23], v[6:7], v[2:3] neg_lo:[0,1] neg_hi:[0,1]
	v_pk_fma_f32 v[2:3], v[4:5], 2.0, v[20:21] op_sel_hi:[1,0,1] neg_lo:[0,0,1] neg_hi:[0,0,1]
	v_pk_fma_f32 v[0:1], v[6:7], 2.0, v[22:23] op_sel_hi:[1,0,1] neg_lo:[0,0,1] neg_hi:[0,0,1]
	v_lshl_or_b32 v19, v9, 5, v19
	v_pk_add_f32 v[0:1], v[2:3], v[0:1] neg_lo:[0,1] neg_hi:[0,1]
	s_nop 0
	v_pk_fma_f32 v[4:5], v[2:3], 2.0, v[0:1] op_sel_hi:[1,0,1] neg_lo:[0,0,1] neg_hi:[0,0,1]
	v_pk_add_f32 v[2:3], v[20:21], v[22:23] op_sel:[0,1] op_sel_hi:[1,0]
	v_pk_add_f32 v[22:23], v[20:21], v[22:23] op_sel:[0,1] op_sel_hi:[1,0] neg_lo:[0,1] neg_hi:[0,1]
	s_nop 0
	v_mov_b32_e32 v3, v23
	v_pk_fma_f32 v[6:7], v[20:21], 2.0, v[2:3] op_sel_hi:[1,0,1] neg_lo:[0,0,1] neg_hi:[0,0,1]
	ds_write_b128 v19, v[4:7]
	ds_write_b128 v19, v[0:3] offset:16
.LBB0_13:
	s_or_b64 exec, exec, s[4:5]
	s_waitcnt lgkmcnt(0)
	; wave barrier
	s_waitcnt lgkmcnt(0)
	ds_read2_b64 v[0:3], v18 offset1:4
	s_waitcnt lgkmcnt(0)
	v_pk_mul_f32 v[4:5], v[10:11], v[2:3]
	s_nop 0
	v_pk_fma_f32 v[6:7], v[12:13], v[2:3], v[4:5] op_sel:[0,0,1] op_sel_hi:[1,1,0]
	v_pk_fma_f32 v[2:3], v[12:13], v[2:3], v[4:5] op_sel:[0,0,1] op_sel_hi:[1,1,0] neg_lo:[0,0,1] neg_hi:[0,0,1]
	s_nop 0
	v_mov_b32_e32 v7, v3
	v_pk_add_f32 v[2:3], v[0:1], v[6:7] neg_lo:[0,1] neg_hi:[0,1]
	s_nop 0
	v_pk_fma_f32 v[0:1], v[0:1], 2.0, v[2:3] op_sel_hi:[1,0,1] neg_lo:[0,0,1] neg_hi:[0,0,1]
	ds_write2_b64 v18, v[0:1], v[2:3] offset1:4
	s_waitcnt lgkmcnt(0)
	; wave barrier
	s_waitcnt lgkmcnt(0)
	s_and_b64 exec, exec, vcc
	s_cbranch_execz .LBB0_15
; %bb.14:
	global_load_dwordx2 v[4:5], v17, s[12:13]
	global_load_dwordx2 v[6:7], v17, s[12:13] offset:16
	global_load_dwordx2 v[10:11], v17, s[12:13] offset:32
	;; [unrolled: 1-line block ×3, first 2 shown]
	v_mad_u64_u32 v[22:23], s[4:5], s2, v8, 0
	ds_read_b64 v[18:19], v18
	v_mad_u64_u32 v[24:25], s[4:5], s0, v9, 0
	ds_read2_b64 v[0:3], v16 offset0:2 offset1:4
	ds_read_b64 v[16:17], v16 offset:48
	v_mov_b32_e32 v30, v23
	v_mad_u64_u32 v[26:27], s[4:5], s0, v14, 0
	v_mad_u64_u32 v[28:29], s[6:7], s0, v15, 0
	v_mov_b32_e32 v32, v25
	v_mad_u64_u32 v[30:31], s[6:7], s3, v8, v[30:31]
	v_mov_b32_e32 v20, s8
	v_mov_b32_e32 v21, s9
	;; [unrolled: 1-line block ×4, first 2 shown]
	v_mad_u64_u32 v[8:9], s[6:7], s1, v9, v[32:33]
	v_mov_b32_e32 v23, v30
	s_lshl_b64 s[4:5], s[0:1], 5
	v_mad_u64_u32 v[32:33], s[6:7], s1, v14, v[34:35]
	v_mad_u64_u32 v[14:15], s[0:1], s1, v15, v[36:37]
	v_mov_b32_e32 v25, v8
	v_lshl_add_u64 v[8:9], v[22:23], 3, v[20:21]
	v_mov_b32_e32 v27, v32
	v_mov_b32_e32 v29, v14
	v_lshl_add_u64 v[14:15], v[24:25], 3, v[8:9]
	v_lshl_add_u64 v[20:21], v[26:27], 3, v[8:9]
	v_lshl_add_u64 v[8:9], v[28:29], 3, v[8:9]
	s_mov_b32 s2, 0x3e000000
	v_lshl_add_u64 v[22:23], v[14:15], 0, s[4:5]
	s_waitcnt vmcnt(3) lgkmcnt(2)
	v_pk_mul_f32 v[24:25], v[18:19], v[4:5] op_sel:[0,1]
	s_waitcnt vmcnt(2) lgkmcnt(1)
	v_pk_mul_f32 v[26:27], v[0:1], v[6:7] op_sel:[0,1]
	s_waitcnt vmcnt(1)
	v_pk_mul_f32 v[28:29], v[2:3], v[10:11] op_sel:[0,1]
	s_waitcnt vmcnt(0) lgkmcnt(0)
	v_pk_mul_f32 v[30:31], v[16:17], v[12:13] op_sel:[0,1]
	v_pk_fma_f32 v[32:33], v[4:5], v[18:19], v[24:25] op_sel:[0,0,1] op_sel_hi:[1,1,0]
	v_pk_fma_f32 v[4:5], v[4:5], v[18:19], v[24:25] op_sel:[0,0,1] op_sel_hi:[0,1,0] neg_lo:[0,0,1] neg_hi:[0,0,1]
	v_pk_fma_f32 v[18:19], v[6:7], v[0:1], v[26:27] op_sel:[0,0,1] op_sel_hi:[1,1,0]
	v_pk_fma_f32 v[0:1], v[6:7], v[0:1], v[26:27] op_sel:[0,0,1] op_sel_hi:[0,1,0] neg_lo:[0,0,1] neg_hi:[0,0,1]
	v_pk_fma_f32 v[6:7], v[10:11], v[2:3], v[28:29] op_sel:[0,0,1] op_sel_hi:[1,1,0]
	v_pk_fma_f32 v[2:3], v[10:11], v[2:3], v[28:29] op_sel:[0,0,1] op_sel_hi:[0,1,0] neg_lo:[0,0,1] neg_hi:[0,0,1]
	v_pk_fma_f32 v[10:11], v[12:13], v[16:17], v[30:31] op_sel:[0,0,1] op_sel_hi:[1,1,0]
	v_pk_fma_f32 v[12:13], v[12:13], v[16:17], v[30:31] op_sel:[0,0,1] op_sel_hi:[0,1,0] neg_lo:[0,0,1] neg_hi:[0,0,1]
	v_mov_b32_e32 v33, v5
	v_mov_b32_e32 v19, v1
	;; [unrolled: 1-line block ×4, first 2 shown]
	v_pk_mul_f32 v[0:1], v[32:33], s[2:3] op_sel_hi:[1,0]
	v_pk_mul_f32 v[2:3], v[18:19], s[2:3] op_sel_hi:[1,0]
	;; [unrolled: 1-line block ×4, first 2 shown]
	global_store_dwordx2 v[14:15], v[0:1], off
	global_store_dwordx2 v[20:21], v[2:3], off
	;; [unrolled: 1-line block ×4, first 2 shown]
.LBB0_15:
	s_endpgm
	.section	.rodata,"a",@progbits
	.p2align	6, 0x0
	.amdhsa_kernel bluestein_single_back_len8_dim1_sp_op_CI_CI
		.amdhsa_group_segment_fixed_size 1024
		.amdhsa_private_segment_fixed_size 0
		.amdhsa_kernarg_size 104
		.amdhsa_user_sgpr_count 2
		.amdhsa_user_sgpr_dispatch_ptr 0
		.amdhsa_user_sgpr_queue_ptr 0
		.amdhsa_user_sgpr_kernarg_segment_ptr 1
		.amdhsa_user_sgpr_dispatch_id 0
		.amdhsa_user_sgpr_kernarg_preload_length 0
		.amdhsa_user_sgpr_kernarg_preload_offset 0
		.amdhsa_user_sgpr_private_segment_size 0
		.amdhsa_uses_dynamic_stack 0
		.amdhsa_enable_private_segment 0
		.amdhsa_system_sgpr_workgroup_id_x 1
		.amdhsa_system_sgpr_workgroup_id_y 0
		.amdhsa_system_sgpr_workgroup_id_z 0
		.amdhsa_system_sgpr_workgroup_info 0
		.amdhsa_system_vgpr_workitem_id 0
		.amdhsa_next_free_vgpr 38
		.amdhsa_next_free_sgpr 14
		.amdhsa_accum_offset 40
		.amdhsa_reserve_vcc 1
		.amdhsa_float_round_mode_32 0
		.amdhsa_float_round_mode_16_64 0
		.amdhsa_float_denorm_mode_32 3
		.amdhsa_float_denorm_mode_16_64 3
		.amdhsa_dx10_clamp 1
		.amdhsa_ieee_mode 1
		.amdhsa_fp16_overflow 0
		.amdhsa_tg_split 0
		.amdhsa_exception_fp_ieee_invalid_op 0
		.amdhsa_exception_fp_denorm_src 0
		.amdhsa_exception_fp_ieee_div_zero 0
		.amdhsa_exception_fp_ieee_overflow 0
		.amdhsa_exception_fp_ieee_underflow 0
		.amdhsa_exception_fp_ieee_inexact 0
		.amdhsa_exception_int_div_zero 0
	.end_amdhsa_kernel
	.text
.Lfunc_end0:
	.size	bluestein_single_back_len8_dim1_sp_op_CI_CI, .Lfunc_end0-bluestein_single_back_len8_dim1_sp_op_CI_CI
                                        ; -- End function
	.section	.AMDGPU.csdata,"",@progbits
; Kernel info:
; codeLenInByte = 1648
; NumSgprs: 20
; NumVgprs: 38
; NumAgprs: 0
; TotalNumVgprs: 38
; ScratchSize: 0
; MemoryBound: 0
; FloatMode: 240
; IeeeMode: 1
; LDSByteSize: 1024 bytes/workgroup (compile time only)
; SGPRBlocks: 2
; VGPRBlocks: 4
; NumSGPRsForWavesPerEU: 20
; NumVGPRsForWavesPerEU: 38
; AccumOffset: 40
; Occupancy: 8
; WaveLimiterHint : 1
; COMPUTE_PGM_RSRC2:SCRATCH_EN: 0
; COMPUTE_PGM_RSRC2:USER_SGPR: 2
; COMPUTE_PGM_RSRC2:TRAP_HANDLER: 0
; COMPUTE_PGM_RSRC2:TGID_X_EN: 1
; COMPUTE_PGM_RSRC2:TGID_Y_EN: 0
; COMPUTE_PGM_RSRC2:TGID_Z_EN: 0
; COMPUTE_PGM_RSRC2:TIDIG_COMP_CNT: 0
; COMPUTE_PGM_RSRC3_GFX90A:ACCUM_OFFSET: 9
; COMPUTE_PGM_RSRC3_GFX90A:TG_SPLIT: 0
	.text
	.p2alignl 6, 3212836864
	.fill 256, 4, 3212836864
	.type	__hip_cuid_690be67619a80ccb,@object ; @__hip_cuid_690be67619a80ccb
	.section	.bss,"aw",@nobits
	.globl	__hip_cuid_690be67619a80ccb
__hip_cuid_690be67619a80ccb:
	.byte	0                               ; 0x0
	.size	__hip_cuid_690be67619a80ccb, 1

	.ident	"AMD clang version 19.0.0git (https://github.com/RadeonOpenCompute/llvm-project roc-6.4.0 25133 c7fe45cf4b819c5991fe208aaa96edf142730f1d)"
	.section	".note.GNU-stack","",@progbits
	.addrsig
	.addrsig_sym __hip_cuid_690be67619a80ccb
	.amdgpu_metadata
---
amdhsa.kernels:
  - .agpr_count:     0
    .args:
      - .actual_access:  read_only
        .address_space:  global
        .offset:         0
        .size:           8
        .value_kind:     global_buffer
      - .actual_access:  read_only
        .address_space:  global
        .offset:         8
        .size:           8
        .value_kind:     global_buffer
      - .actual_access:  read_only
        .address_space:  global
        .offset:         16
        .size:           8
        .value_kind:     global_buffer
      - .actual_access:  read_only
        .address_space:  global
        .offset:         24
        .size:           8
        .value_kind:     global_buffer
      - .actual_access:  read_only
        .address_space:  global
        .offset:         32
        .size:           8
        .value_kind:     global_buffer
      - .offset:         40
        .size:           8
        .value_kind:     by_value
      - .address_space:  global
        .offset:         48
        .size:           8
        .value_kind:     global_buffer
      - .address_space:  global
        .offset:         56
        .size:           8
        .value_kind:     global_buffer
      - .address_space:  global
        .offset:         64
        .size:           8
        .value_kind:     global_buffer
      - .address_space:  global
        .offset:         72
        .size:           8
        .value_kind:     global_buffer
      - .offset:         80
        .size:           4
        .value_kind:     by_value
      - .address_space:  global
        .offset:         88
        .size:           8
        .value_kind:     global_buffer
      - .address_space:  global
        .offset:         96
        .size:           8
        .value_kind:     global_buffer
    .group_segment_fixed_size: 1024
    .kernarg_segment_align: 8
    .kernarg_segment_size: 104
    .language:       OpenCL C
    .language_version:
      - 2
      - 0
    .max_flat_workgroup_size: 64
    .name:           bluestein_single_back_len8_dim1_sp_op_CI_CI
    .private_segment_fixed_size: 0
    .sgpr_count:     20
    .sgpr_spill_count: 0
    .symbol:         bluestein_single_back_len8_dim1_sp_op_CI_CI.kd
    .uniform_work_group_size: 1
    .uses_dynamic_stack: false
    .vgpr_count:     38
    .vgpr_spill_count: 0
    .wavefront_size: 64
amdhsa.target:   amdgcn-amd-amdhsa--gfx950
amdhsa.version:
  - 1
  - 2
...

	.end_amdgpu_metadata
